;; amdgpu-corpus repo=ROCm/rocSPARSE kind=compiled arch=gfx906 opt=O3
	.amdgcn_target "amdgcn-amd-amdhsa--gfx906"
	.amdhsa_code_object_version 6
	.section	.text._ZN9rocsparseL20csxtril_count_kernelILj1024EL20rocsparse_diag_type_1ELS1_0EiiEEvT3_PKT2_PKS2_21rocsparse_index_base_PS3_S9_,"axG",@progbits,_ZN9rocsparseL20csxtril_count_kernelILj1024EL20rocsparse_diag_type_1ELS1_0EiiEEvT3_PKT2_PKS2_21rocsparse_index_base_PS3_S9_,comdat
	.globl	_ZN9rocsparseL20csxtril_count_kernelILj1024EL20rocsparse_diag_type_1ELS1_0EiiEEvT3_PKT2_PKS2_21rocsparse_index_base_PS3_S9_ ; -- Begin function _ZN9rocsparseL20csxtril_count_kernelILj1024EL20rocsparse_diag_type_1ELS1_0EiiEEvT3_PKT2_PKS2_21rocsparse_index_base_PS3_S9_
	.p2align	8
	.type	_ZN9rocsparseL20csxtril_count_kernelILj1024EL20rocsparse_diag_type_1ELS1_0EiiEEvT3_PKT2_PKS2_21rocsparse_index_base_PS3_S9_,@function
_ZN9rocsparseL20csxtril_count_kernelILj1024EL20rocsparse_diag_type_1ELS1_0EiiEEvT3_PKT2_PKS2_21rocsparse_index_base_PS3_S9_: ; @_ZN9rocsparseL20csxtril_count_kernelILj1024EL20rocsparse_diag_type_1ELS1_0EiiEEvT3_PKT2_PKS2_21rocsparse_index_base_PS3_S9_
; %bb.0:
	s_load_dword s0, s[4:5], 0x3c
	s_load_dword s1, s[4:5], 0x0
	s_waitcnt lgkmcnt(0)
	s_and_b32 s0, s0, 0xffff
	s_mul_i32 s6, s6, s0
	v_add_u32_e32 v2, s6, v0
	v_cmp_gt_i32_e32 vcc, s1, v2
	s_and_saveexec_b64 s[0:1], vcc
	s_cbranch_execz .LBB0_6
; %bb.1:
	s_load_dwordx4 s[0:3], s[4:5], 0x8
	v_ashrrev_i32_e32 v3, 31, v2
	v_lshlrev_b64 v[0:1], 2, v[2:3]
	v_mov_b32_e32 v6, 0
	v_mov_b32_e32 v7, 0
	s_waitcnt lgkmcnt(0)
	v_mov_b32_e32 v4, s1
	v_add_co_u32_e32 v3, vcc, s0, v0
	v_addc_co_u32_e32 v4, vcc, v4, v1, vcc
	global_load_dwordx2 v[3:4], v[3:4], off
	s_waitcnt vmcnt(0)
	v_cmp_lt_i32_e32 vcc, v3, v4
	s_and_saveexec_b64 s[0:1], vcc
	s_cbranch_execz .LBB0_5
; %bb.2:
	s_load_dword s6, s[4:5], 0x18
	v_mov_b32_e32 v6, s3
	v_mov_b32_e32 v7, 0
	s_waitcnt lgkmcnt(0)
	v_subrev_u32_e32 v3, s6, v3
	v_subrev_u32_e32 v8, s6, v4
	v_ashrrev_i32_e32 v4, 31, v3
	v_lshlrev_b64 v[4:5], 2, v[3:4]
	v_add_co_u32_e32 v4, vcc, s2, v4
	v_addc_co_u32_e32 v5, vcc, v6, v5, vcc
	v_mov_b32_e32 v6, 0
	s_mov_b64 s[2:3], 0
.LBB0_3:                                ; =>This Inner Loop Header: Depth=1
	global_load_dword v9, v[4:5], off
	v_add_co_u32_e32 v4, vcc, 4, v4
	v_add_u32_e32 v3, 1, v3
	v_addc_co_u32_e32 v5, vcc, 0, v5, vcc
	v_cmp_ge_i32_e32 vcc, v3, v8
	s_or_b64 s[2:3], vcc, s[2:3]
	s_waitcnt vmcnt(0)
	v_subrev_u32_e32 v9, s6, v9
	v_cmp_le_i32_e32 vcc, v2, v9
	v_addc_co_u32_e32 v7, vcc, 0, v7, vcc
	v_cmp_gt_i32_e32 vcc, v2, v9
	v_addc_co_u32_e32 v6, vcc, 0, v6, vcc
	s_andn2_b64 exec, exec, s[2:3]
	s_cbranch_execnz .LBB0_3
; %bb.4:
	s_or_b64 exec, exec, s[2:3]
.LBB0_5:
	s_or_b64 exec, exec, s[0:1]
	s_load_dwordx4 s[0:3], s[4:5], 0x20
	s_waitcnt lgkmcnt(0)
	v_mov_b32_e32 v3, s1
	v_add_co_u32_e32 v2, vcc, s0, v0
	v_addc_co_u32_e32 v3, vcc, v3, v1, vcc
	v_mov_b32_e32 v4, s3
	v_add_co_u32_e32 v0, vcc, s2, v0
	v_addc_co_u32_e32 v1, vcc, v4, v1, vcc
	global_store_dword v[2:3], v6, off offset:4
	global_store_dword v[0:1], v7, off offset:4
.LBB0_6:
	s_endpgm
	.section	.rodata,"a",@progbits
	.p2align	6, 0x0
	.amdhsa_kernel _ZN9rocsparseL20csxtril_count_kernelILj1024EL20rocsparse_diag_type_1ELS1_0EiiEEvT3_PKT2_PKS2_21rocsparse_index_base_PS3_S9_
		.amdhsa_group_segment_fixed_size 0
		.amdhsa_private_segment_fixed_size 0
		.amdhsa_kernarg_size 304
		.amdhsa_user_sgpr_count 6
		.amdhsa_user_sgpr_private_segment_buffer 1
		.amdhsa_user_sgpr_dispatch_ptr 0
		.amdhsa_user_sgpr_queue_ptr 0
		.amdhsa_user_sgpr_kernarg_segment_ptr 1
		.amdhsa_user_sgpr_dispatch_id 0
		.amdhsa_user_sgpr_flat_scratch_init 0
		.amdhsa_user_sgpr_private_segment_size 0
		.amdhsa_uses_dynamic_stack 0
		.amdhsa_system_sgpr_private_segment_wavefront_offset 0
		.amdhsa_system_sgpr_workgroup_id_x 1
		.amdhsa_system_sgpr_workgroup_id_y 0
		.amdhsa_system_sgpr_workgroup_id_z 0
		.amdhsa_system_sgpr_workgroup_info 0
		.amdhsa_system_vgpr_workitem_id 0
		.amdhsa_next_free_vgpr 10
		.amdhsa_next_free_sgpr 7
		.amdhsa_reserve_vcc 1
		.amdhsa_reserve_flat_scratch 0
		.amdhsa_float_round_mode_32 0
		.amdhsa_float_round_mode_16_64 0
		.amdhsa_float_denorm_mode_32 3
		.amdhsa_float_denorm_mode_16_64 3
		.amdhsa_dx10_clamp 1
		.amdhsa_ieee_mode 1
		.amdhsa_fp16_overflow 0
		.amdhsa_exception_fp_ieee_invalid_op 0
		.amdhsa_exception_fp_denorm_src 0
		.amdhsa_exception_fp_ieee_div_zero 0
		.amdhsa_exception_fp_ieee_overflow 0
		.amdhsa_exception_fp_ieee_underflow 0
		.amdhsa_exception_fp_ieee_inexact 0
		.amdhsa_exception_int_div_zero 0
	.end_amdhsa_kernel
	.section	.text._ZN9rocsparseL20csxtril_count_kernelILj1024EL20rocsparse_diag_type_1ELS1_0EiiEEvT3_PKT2_PKS2_21rocsparse_index_base_PS3_S9_,"axG",@progbits,_ZN9rocsparseL20csxtril_count_kernelILj1024EL20rocsparse_diag_type_1ELS1_0EiiEEvT3_PKT2_PKS2_21rocsparse_index_base_PS3_S9_,comdat
.Lfunc_end0:
	.size	_ZN9rocsparseL20csxtril_count_kernelILj1024EL20rocsparse_diag_type_1ELS1_0EiiEEvT3_PKT2_PKS2_21rocsparse_index_base_PS3_S9_, .Lfunc_end0-_ZN9rocsparseL20csxtril_count_kernelILj1024EL20rocsparse_diag_type_1ELS1_0EiiEEvT3_PKT2_PKS2_21rocsparse_index_base_PS3_S9_
                                        ; -- End function
	.set _ZN9rocsparseL20csxtril_count_kernelILj1024EL20rocsparse_diag_type_1ELS1_0EiiEEvT3_PKT2_PKS2_21rocsparse_index_base_PS3_S9_.num_vgpr, 10
	.set _ZN9rocsparseL20csxtril_count_kernelILj1024EL20rocsparse_diag_type_1ELS1_0EiiEEvT3_PKT2_PKS2_21rocsparse_index_base_PS3_S9_.num_agpr, 0
	.set _ZN9rocsparseL20csxtril_count_kernelILj1024EL20rocsparse_diag_type_1ELS1_0EiiEEvT3_PKT2_PKS2_21rocsparse_index_base_PS3_S9_.numbered_sgpr, 7
	.set _ZN9rocsparseL20csxtril_count_kernelILj1024EL20rocsparse_diag_type_1ELS1_0EiiEEvT3_PKT2_PKS2_21rocsparse_index_base_PS3_S9_.num_named_barrier, 0
	.set _ZN9rocsparseL20csxtril_count_kernelILj1024EL20rocsparse_diag_type_1ELS1_0EiiEEvT3_PKT2_PKS2_21rocsparse_index_base_PS3_S9_.private_seg_size, 0
	.set _ZN9rocsparseL20csxtril_count_kernelILj1024EL20rocsparse_diag_type_1ELS1_0EiiEEvT3_PKT2_PKS2_21rocsparse_index_base_PS3_S9_.uses_vcc, 1
	.set _ZN9rocsparseL20csxtril_count_kernelILj1024EL20rocsparse_diag_type_1ELS1_0EiiEEvT3_PKT2_PKS2_21rocsparse_index_base_PS3_S9_.uses_flat_scratch, 0
	.set _ZN9rocsparseL20csxtril_count_kernelILj1024EL20rocsparse_diag_type_1ELS1_0EiiEEvT3_PKT2_PKS2_21rocsparse_index_base_PS3_S9_.has_dyn_sized_stack, 0
	.set _ZN9rocsparseL20csxtril_count_kernelILj1024EL20rocsparse_diag_type_1ELS1_0EiiEEvT3_PKT2_PKS2_21rocsparse_index_base_PS3_S9_.has_recursion, 0
	.set _ZN9rocsparseL20csxtril_count_kernelILj1024EL20rocsparse_diag_type_1ELS1_0EiiEEvT3_PKT2_PKS2_21rocsparse_index_base_PS3_S9_.has_indirect_call, 0
	.section	.AMDGPU.csdata,"",@progbits
; Kernel info:
; codeLenInByte = 296
; TotalNumSgprs: 11
; NumVgprs: 10
; ScratchSize: 0
; MemoryBound: 0
; FloatMode: 240
; IeeeMode: 1
; LDSByteSize: 0 bytes/workgroup (compile time only)
; SGPRBlocks: 1
; VGPRBlocks: 2
; NumSGPRsForWavesPerEU: 11
; NumVGPRsForWavesPerEU: 10
; Occupancy: 10
; WaveLimiterHint : 0
; COMPUTE_PGM_RSRC2:SCRATCH_EN: 0
; COMPUTE_PGM_RSRC2:USER_SGPR: 6
; COMPUTE_PGM_RSRC2:TRAP_HANDLER: 0
; COMPUTE_PGM_RSRC2:TGID_X_EN: 1
; COMPUTE_PGM_RSRC2:TGID_Y_EN: 0
; COMPUTE_PGM_RSRC2:TGID_Z_EN: 0
; COMPUTE_PGM_RSRC2:TIDIG_COMP_CNT: 0
	.section	.text._ZN9rocsparseL20csxtril_count_kernelILj1024EL20rocsparse_diag_type_1ELS1_1EiiEEvT3_PKT2_PKS2_21rocsparse_index_base_PS3_S9_,"axG",@progbits,_ZN9rocsparseL20csxtril_count_kernelILj1024EL20rocsparse_diag_type_1ELS1_1EiiEEvT3_PKT2_PKS2_21rocsparse_index_base_PS3_S9_,comdat
	.globl	_ZN9rocsparseL20csxtril_count_kernelILj1024EL20rocsparse_diag_type_1ELS1_1EiiEEvT3_PKT2_PKS2_21rocsparse_index_base_PS3_S9_ ; -- Begin function _ZN9rocsparseL20csxtril_count_kernelILj1024EL20rocsparse_diag_type_1ELS1_1EiiEEvT3_PKT2_PKS2_21rocsparse_index_base_PS3_S9_
	.p2align	8
	.type	_ZN9rocsparseL20csxtril_count_kernelILj1024EL20rocsparse_diag_type_1ELS1_1EiiEEvT3_PKT2_PKS2_21rocsparse_index_base_PS3_S9_,@function
_ZN9rocsparseL20csxtril_count_kernelILj1024EL20rocsparse_diag_type_1ELS1_1EiiEEvT3_PKT2_PKS2_21rocsparse_index_base_PS3_S9_: ; @_ZN9rocsparseL20csxtril_count_kernelILj1024EL20rocsparse_diag_type_1ELS1_1EiiEEvT3_PKT2_PKS2_21rocsparse_index_base_PS3_S9_
; %bb.0:
	s_load_dword s0, s[4:5], 0x3c
	s_load_dword s1, s[4:5], 0x0
	s_waitcnt lgkmcnt(0)
	s_and_b32 s0, s0, 0xffff
	s_mul_i32 s6, s6, s0
	v_add_u32_e32 v2, s6, v0
	v_cmp_gt_i32_e32 vcc, s1, v2
	s_and_saveexec_b64 s[0:1], vcc
	s_cbranch_execz .LBB1_6
; %bb.1:
	s_load_dwordx4 s[0:3], s[4:5], 0x8
	v_ashrrev_i32_e32 v3, 31, v2
	v_lshlrev_b64 v[0:1], 2, v[2:3]
	v_mov_b32_e32 v6, 0
	v_mov_b32_e32 v7, 0
	s_waitcnt lgkmcnt(0)
	v_mov_b32_e32 v4, s1
	v_add_co_u32_e32 v3, vcc, s0, v0
	v_addc_co_u32_e32 v4, vcc, v4, v1, vcc
	global_load_dwordx2 v[3:4], v[3:4], off
	s_waitcnt vmcnt(0)
	v_cmp_lt_i32_e32 vcc, v3, v4
	s_and_saveexec_b64 s[0:1], vcc
	s_cbranch_execz .LBB1_5
; %bb.2:
	s_load_dword s6, s[4:5], 0x18
	v_mov_b32_e32 v6, s3
	v_mov_b32_e32 v7, 0
	s_waitcnt lgkmcnt(0)
	v_subrev_u32_e32 v3, s6, v3
	v_subrev_u32_e32 v8, s6, v4
	v_ashrrev_i32_e32 v4, 31, v3
	v_lshlrev_b64 v[4:5], 2, v[3:4]
	v_add_co_u32_e32 v4, vcc, s2, v4
	v_addc_co_u32_e32 v5, vcc, v6, v5, vcc
	v_mov_b32_e32 v6, 0
	s_mov_b64 s[2:3], 0
.LBB1_3:                                ; =>This Inner Loop Header: Depth=1
	global_load_dword v9, v[4:5], off
	v_add_co_u32_e32 v4, vcc, 4, v4
	v_add_u32_e32 v3, 1, v3
	v_addc_co_u32_e32 v5, vcc, 0, v5, vcc
	v_cmp_ge_i32_e32 vcc, v3, v8
	s_or_b64 s[2:3], vcc, s[2:3]
	s_waitcnt vmcnt(0)
	v_subrev_u32_e32 v9, s6, v9
	v_cmp_lt_i32_e32 vcc, v2, v9
	v_addc_co_u32_e32 v7, vcc, 0, v7, vcc
	v_cmp_gt_i32_e32 vcc, v2, v9
	v_addc_co_u32_e32 v6, vcc, 0, v6, vcc
	s_andn2_b64 exec, exec, s[2:3]
	s_cbranch_execnz .LBB1_3
; %bb.4:
	s_or_b64 exec, exec, s[2:3]
.LBB1_5:
	s_or_b64 exec, exec, s[0:1]
	s_load_dwordx4 s[0:3], s[4:5], 0x20
	s_waitcnt lgkmcnt(0)
	v_mov_b32_e32 v3, s1
	v_add_co_u32_e32 v2, vcc, s0, v0
	v_addc_co_u32_e32 v3, vcc, v3, v1, vcc
	v_mov_b32_e32 v4, s3
	v_add_co_u32_e32 v0, vcc, s2, v0
	v_addc_co_u32_e32 v1, vcc, v4, v1, vcc
	global_store_dword v[2:3], v6, off offset:4
	global_store_dword v[0:1], v7, off offset:4
.LBB1_6:
	s_endpgm
	.section	.rodata,"a",@progbits
	.p2align	6, 0x0
	.amdhsa_kernel _ZN9rocsparseL20csxtril_count_kernelILj1024EL20rocsparse_diag_type_1ELS1_1EiiEEvT3_PKT2_PKS2_21rocsparse_index_base_PS3_S9_
		.amdhsa_group_segment_fixed_size 0
		.amdhsa_private_segment_fixed_size 0
		.amdhsa_kernarg_size 304
		.amdhsa_user_sgpr_count 6
		.amdhsa_user_sgpr_private_segment_buffer 1
		.amdhsa_user_sgpr_dispatch_ptr 0
		.amdhsa_user_sgpr_queue_ptr 0
		.amdhsa_user_sgpr_kernarg_segment_ptr 1
		.amdhsa_user_sgpr_dispatch_id 0
		.amdhsa_user_sgpr_flat_scratch_init 0
		.amdhsa_user_sgpr_private_segment_size 0
		.amdhsa_uses_dynamic_stack 0
		.amdhsa_system_sgpr_private_segment_wavefront_offset 0
		.amdhsa_system_sgpr_workgroup_id_x 1
		.amdhsa_system_sgpr_workgroup_id_y 0
		.amdhsa_system_sgpr_workgroup_id_z 0
		.amdhsa_system_sgpr_workgroup_info 0
		.amdhsa_system_vgpr_workitem_id 0
		.amdhsa_next_free_vgpr 10
		.amdhsa_next_free_sgpr 7
		.amdhsa_reserve_vcc 1
		.amdhsa_reserve_flat_scratch 0
		.amdhsa_float_round_mode_32 0
		.amdhsa_float_round_mode_16_64 0
		.amdhsa_float_denorm_mode_32 3
		.amdhsa_float_denorm_mode_16_64 3
		.amdhsa_dx10_clamp 1
		.amdhsa_ieee_mode 1
		.amdhsa_fp16_overflow 0
		.amdhsa_exception_fp_ieee_invalid_op 0
		.amdhsa_exception_fp_denorm_src 0
		.amdhsa_exception_fp_ieee_div_zero 0
		.amdhsa_exception_fp_ieee_overflow 0
		.amdhsa_exception_fp_ieee_underflow 0
		.amdhsa_exception_fp_ieee_inexact 0
		.amdhsa_exception_int_div_zero 0
	.end_amdhsa_kernel
	.section	.text._ZN9rocsparseL20csxtril_count_kernelILj1024EL20rocsparse_diag_type_1ELS1_1EiiEEvT3_PKT2_PKS2_21rocsparse_index_base_PS3_S9_,"axG",@progbits,_ZN9rocsparseL20csxtril_count_kernelILj1024EL20rocsparse_diag_type_1ELS1_1EiiEEvT3_PKT2_PKS2_21rocsparse_index_base_PS3_S9_,comdat
.Lfunc_end1:
	.size	_ZN9rocsparseL20csxtril_count_kernelILj1024EL20rocsparse_diag_type_1ELS1_1EiiEEvT3_PKT2_PKS2_21rocsparse_index_base_PS3_S9_, .Lfunc_end1-_ZN9rocsparseL20csxtril_count_kernelILj1024EL20rocsparse_diag_type_1ELS1_1EiiEEvT3_PKT2_PKS2_21rocsparse_index_base_PS3_S9_
                                        ; -- End function
	.set _ZN9rocsparseL20csxtril_count_kernelILj1024EL20rocsparse_diag_type_1ELS1_1EiiEEvT3_PKT2_PKS2_21rocsparse_index_base_PS3_S9_.num_vgpr, 10
	.set _ZN9rocsparseL20csxtril_count_kernelILj1024EL20rocsparse_diag_type_1ELS1_1EiiEEvT3_PKT2_PKS2_21rocsparse_index_base_PS3_S9_.num_agpr, 0
	.set _ZN9rocsparseL20csxtril_count_kernelILj1024EL20rocsparse_diag_type_1ELS1_1EiiEEvT3_PKT2_PKS2_21rocsparse_index_base_PS3_S9_.numbered_sgpr, 7
	.set _ZN9rocsparseL20csxtril_count_kernelILj1024EL20rocsparse_diag_type_1ELS1_1EiiEEvT3_PKT2_PKS2_21rocsparse_index_base_PS3_S9_.num_named_barrier, 0
	.set _ZN9rocsparseL20csxtril_count_kernelILj1024EL20rocsparse_diag_type_1ELS1_1EiiEEvT3_PKT2_PKS2_21rocsparse_index_base_PS3_S9_.private_seg_size, 0
	.set _ZN9rocsparseL20csxtril_count_kernelILj1024EL20rocsparse_diag_type_1ELS1_1EiiEEvT3_PKT2_PKS2_21rocsparse_index_base_PS3_S9_.uses_vcc, 1
	.set _ZN9rocsparseL20csxtril_count_kernelILj1024EL20rocsparse_diag_type_1ELS1_1EiiEEvT3_PKT2_PKS2_21rocsparse_index_base_PS3_S9_.uses_flat_scratch, 0
	.set _ZN9rocsparseL20csxtril_count_kernelILj1024EL20rocsparse_diag_type_1ELS1_1EiiEEvT3_PKT2_PKS2_21rocsparse_index_base_PS3_S9_.has_dyn_sized_stack, 0
	.set _ZN9rocsparseL20csxtril_count_kernelILj1024EL20rocsparse_diag_type_1ELS1_1EiiEEvT3_PKT2_PKS2_21rocsparse_index_base_PS3_S9_.has_recursion, 0
	.set _ZN9rocsparseL20csxtril_count_kernelILj1024EL20rocsparse_diag_type_1ELS1_1EiiEEvT3_PKT2_PKS2_21rocsparse_index_base_PS3_S9_.has_indirect_call, 0
	.section	.AMDGPU.csdata,"",@progbits
; Kernel info:
; codeLenInByte = 296
; TotalNumSgprs: 11
; NumVgprs: 10
; ScratchSize: 0
; MemoryBound: 0
; FloatMode: 240
; IeeeMode: 1
; LDSByteSize: 0 bytes/workgroup (compile time only)
; SGPRBlocks: 1
; VGPRBlocks: 2
; NumSGPRsForWavesPerEU: 11
; NumVGPRsForWavesPerEU: 10
; Occupancy: 10
; WaveLimiterHint : 0
; COMPUTE_PGM_RSRC2:SCRATCH_EN: 0
; COMPUTE_PGM_RSRC2:USER_SGPR: 6
; COMPUTE_PGM_RSRC2:TRAP_HANDLER: 0
; COMPUTE_PGM_RSRC2:TGID_X_EN: 1
; COMPUTE_PGM_RSRC2:TGID_Y_EN: 0
; COMPUTE_PGM_RSRC2:TGID_Z_EN: 0
; COMPUTE_PGM_RSRC2:TIDIG_COMP_CNT: 0
	.section	.text._ZN9rocsparseL20csxtril_count_kernelILj1024EL20rocsparse_diag_type_0ELS1_1EiiEEvT3_PKT2_PKS2_21rocsparse_index_base_PS3_S9_,"axG",@progbits,_ZN9rocsparseL20csxtril_count_kernelILj1024EL20rocsparse_diag_type_0ELS1_1EiiEEvT3_PKT2_PKS2_21rocsparse_index_base_PS3_S9_,comdat
	.globl	_ZN9rocsparseL20csxtril_count_kernelILj1024EL20rocsparse_diag_type_0ELS1_1EiiEEvT3_PKT2_PKS2_21rocsparse_index_base_PS3_S9_ ; -- Begin function _ZN9rocsparseL20csxtril_count_kernelILj1024EL20rocsparse_diag_type_0ELS1_1EiiEEvT3_PKT2_PKS2_21rocsparse_index_base_PS3_S9_
	.p2align	8
	.type	_ZN9rocsparseL20csxtril_count_kernelILj1024EL20rocsparse_diag_type_0ELS1_1EiiEEvT3_PKT2_PKS2_21rocsparse_index_base_PS3_S9_,@function
_ZN9rocsparseL20csxtril_count_kernelILj1024EL20rocsparse_diag_type_0ELS1_1EiiEEvT3_PKT2_PKS2_21rocsparse_index_base_PS3_S9_: ; @_ZN9rocsparseL20csxtril_count_kernelILj1024EL20rocsparse_diag_type_0ELS1_1EiiEEvT3_PKT2_PKS2_21rocsparse_index_base_PS3_S9_
; %bb.0:
	s_load_dword s0, s[4:5], 0x3c
	s_load_dword s1, s[4:5], 0x0
	s_waitcnt lgkmcnt(0)
	s_and_b32 s0, s0, 0xffff
	s_mul_i32 s6, s6, s0
	v_add_u32_e32 v2, s6, v0
	v_cmp_gt_i32_e32 vcc, s1, v2
	s_and_saveexec_b64 s[0:1], vcc
	s_cbranch_execz .LBB2_14
; %bb.1:
	s_load_dwordx4 s[0:3], s[4:5], 0x8
	v_ashrrev_i32_e32 v3, 31, v2
	v_lshlrev_b64 v[0:1], 2, v[2:3]
	v_mov_b32_e32 v6, 0
	v_mov_b32_e32 v7, 0
	s_waitcnt lgkmcnt(0)
	v_mov_b32_e32 v4, s1
	v_add_co_u32_e32 v3, vcc, s0, v0
	v_addc_co_u32_e32 v4, vcc, v4, v1, vcc
	global_load_dwordx2 v[3:4], v[3:4], off
	s_waitcnt vmcnt(0)
	v_cmp_lt_i32_e32 vcc, v3, v4
	s_and_saveexec_b64 s[0:1], vcc
	s_cbranch_execz .LBB2_13
; %bb.2:
	s_load_dword s10, s[4:5], 0x18
	v_mov_b32_e32 v6, s3
	v_mov_b32_e32 v7, 0
	s_waitcnt lgkmcnt(0)
	v_subrev_u32_e32 v3, s10, v3
	v_subrev_u32_e32 v8, s10, v4
	v_ashrrev_i32_e32 v4, 31, v3
	v_lshlrev_b64 v[4:5], 2, v[3:4]
	v_add_co_u32_e32 v4, vcc, s2, v4
	v_addc_co_u32_e32 v5, vcc, v6, v5, vcc
	v_mov_b32_e32 v6, 0
	s_mov_b64 s[2:3], 0
	s_branch .LBB2_4
.LBB2_3:                                ;   in Loop: Header=BB2_4 Depth=1
	s_or_b64 exec, exec, s[6:7]
	v_add_u32_e32 v3, 1, v3
	v_cmp_ge_i32_e32 vcc, v3, v8
	s_or_b64 s[2:3], vcc, s[2:3]
	v_add_co_u32_e32 v4, vcc, 4, v4
	v_addc_co_u32_e32 v5, vcc, 0, v5, vcc
	s_andn2_b64 exec, exec, s[2:3]
	s_cbranch_execz .LBB2_12
.LBB2_4:                                ; =>This Inner Loop Header: Depth=1
	global_load_dword v9, v[4:5], off
	s_waitcnt vmcnt(0)
	v_subrev_u32_e32 v9, s10, v9
	v_cmp_le_i32_e32 vcc, v2, v9
	s_and_saveexec_b64 s[6:7], vcc
	s_xor_b64 s[6:7], exec, s[6:7]
	s_cbranch_execz .LBB2_10
; %bb.5:                                ;   in Loop: Header=BB2_4 Depth=1
	v_cmp_ge_i32_e32 vcc, v2, v9
	s_and_saveexec_b64 s[8:9], vcc
	s_xor_b64 s[8:9], exec, s[8:9]
; %bb.6:                                ;   in Loop: Header=BB2_4 Depth=1
	v_add_u32_e32 v6, 1, v6
; %bb.7:                                ;   in Loop: Header=BB2_4 Depth=1
	s_andn2_saveexec_b64 s[8:9], s[8:9]
; %bb.8:                                ;   in Loop: Header=BB2_4 Depth=1
	v_add_u32_e32 v7, 1, v7
; %bb.9:                                ;   in Loop: Header=BB2_4 Depth=1
	s_or_b64 exec, exec, s[8:9]
.LBB2_10:                               ;   in Loop: Header=BB2_4 Depth=1
	s_andn2_saveexec_b64 s[6:7], s[6:7]
	s_cbranch_execz .LBB2_3
; %bb.11:                               ;   in Loop: Header=BB2_4 Depth=1
	v_add_u32_e32 v6, 1, v6
	s_branch .LBB2_3
.LBB2_12:
	s_or_b64 exec, exec, s[2:3]
.LBB2_13:
	s_or_b64 exec, exec, s[0:1]
	s_load_dwordx4 s[0:3], s[4:5], 0x20
	s_waitcnt lgkmcnt(0)
	v_mov_b32_e32 v3, s1
	v_add_co_u32_e32 v2, vcc, s0, v0
	v_addc_co_u32_e32 v3, vcc, v3, v1, vcc
	v_mov_b32_e32 v4, s3
	v_add_co_u32_e32 v0, vcc, s2, v0
	v_addc_co_u32_e32 v1, vcc, v4, v1, vcc
	global_store_dword v[2:3], v6, off offset:4
	global_store_dword v[0:1], v7, off offset:4
.LBB2_14:
	s_endpgm
	.section	.rodata,"a",@progbits
	.p2align	6, 0x0
	.amdhsa_kernel _ZN9rocsparseL20csxtril_count_kernelILj1024EL20rocsparse_diag_type_0ELS1_1EiiEEvT3_PKT2_PKS2_21rocsparse_index_base_PS3_S9_
		.amdhsa_group_segment_fixed_size 0
		.amdhsa_private_segment_fixed_size 0
		.amdhsa_kernarg_size 304
		.amdhsa_user_sgpr_count 6
		.amdhsa_user_sgpr_private_segment_buffer 1
		.amdhsa_user_sgpr_dispatch_ptr 0
		.amdhsa_user_sgpr_queue_ptr 0
		.amdhsa_user_sgpr_kernarg_segment_ptr 1
		.amdhsa_user_sgpr_dispatch_id 0
		.amdhsa_user_sgpr_flat_scratch_init 0
		.amdhsa_user_sgpr_private_segment_size 0
		.amdhsa_uses_dynamic_stack 0
		.amdhsa_system_sgpr_private_segment_wavefront_offset 0
		.amdhsa_system_sgpr_workgroup_id_x 1
		.amdhsa_system_sgpr_workgroup_id_y 0
		.amdhsa_system_sgpr_workgroup_id_z 0
		.amdhsa_system_sgpr_workgroup_info 0
		.amdhsa_system_vgpr_workitem_id 0
		.amdhsa_next_free_vgpr 10
		.amdhsa_next_free_sgpr 11
		.amdhsa_reserve_vcc 1
		.amdhsa_reserve_flat_scratch 0
		.amdhsa_float_round_mode_32 0
		.amdhsa_float_round_mode_16_64 0
		.amdhsa_float_denorm_mode_32 3
		.amdhsa_float_denorm_mode_16_64 3
		.amdhsa_dx10_clamp 1
		.amdhsa_ieee_mode 1
		.amdhsa_fp16_overflow 0
		.amdhsa_exception_fp_ieee_invalid_op 0
		.amdhsa_exception_fp_denorm_src 0
		.amdhsa_exception_fp_ieee_div_zero 0
		.amdhsa_exception_fp_ieee_overflow 0
		.amdhsa_exception_fp_ieee_underflow 0
		.amdhsa_exception_fp_ieee_inexact 0
		.amdhsa_exception_int_div_zero 0
	.end_amdhsa_kernel
	.section	.text._ZN9rocsparseL20csxtril_count_kernelILj1024EL20rocsparse_diag_type_0ELS1_1EiiEEvT3_PKT2_PKS2_21rocsparse_index_base_PS3_S9_,"axG",@progbits,_ZN9rocsparseL20csxtril_count_kernelILj1024EL20rocsparse_diag_type_0ELS1_1EiiEEvT3_PKT2_PKS2_21rocsparse_index_base_PS3_S9_,comdat
.Lfunc_end2:
	.size	_ZN9rocsparseL20csxtril_count_kernelILj1024EL20rocsparse_diag_type_0ELS1_1EiiEEvT3_PKT2_PKS2_21rocsparse_index_base_PS3_S9_, .Lfunc_end2-_ZN9rocsparseL20csxtril_count_kernelILj1024EL20rocsparse_diag_type_0ELS1_1EiiEEvT3_PKT2_PKS2_21rocsparse_index_base_PS3_S9_
                                        ; -- End function
	.set _ZN9rocsparseL20csxtril_count_kernelILj1024EL20rocsparse_diag_type_0ELS1_1EiiEEvT3_PKT2_PKS2_21rocsparse_index_base_PS3_S9_.num_vgpr, 10
	.set _ZN9rocsparseL20csxtril_count_kernelILj1024EL20rocsparse_diag_type_0ELS1_1EiiEEvT3_PKT2_PKS2_21rocsparse_index_base_PS3_S9_.num_agpr, 0
	.set _ZN9rocsparseL20csxtril_count_kernelILj1024EL20rocsparse_diag_type_0ELS1_1EiiEEvT3_PKT2_PKS2_21rocsparse_index_base_PS3_S9_.numbered_sgpr, 11
	.set _ZN9rocsparseL20csxtril_count_kernelILj1024EL20rocsparse_diag_type_0ELS1_1EiiEEvT3_PKT2_PKS2_21rocsparse_index_base_PS3_S9_.num_named_barrier, 0
	.set _ZN9rocsparseL20csxtril_count_kernelILj1024EL20rocsparse_diag_type_0ELS1_1EiiEEvT3_PKT2_PKS2_21rocsparse_index_base_PS3_S9_.private_seg_size, 0
	.set _ZN9rocsparseL20csxtril_count_kernelILj1024EL20rocsparse_diag_type_0ELS1_1EiiEEvT3_PKT2_PKS2_21rocsparse_index_base_PS3_S9_.uses_vcc, 1
	.set _ZN9rocsparseL20csxtril_count_kernelILj1024EL20rocsparse_diag_type_0ELS1_1EiiEEvT3_PKT2_PKS2_21rocsparse_index_base_PS3_S9_.uses_flat_scratch, 0
	.set _ZN9rocsparseL20csxtril_count_kernelILj1024EL20rocsparse_diag_type_0ELS1_1EiiEEvT3_PKT2_PKS2_21rocsparse_index_base_PS3_S9_.has_dyn_sized_stack, 0
	.set _ZN9rocsparseL20csxtril_count_kernelILj1024EL20rocsparse_diag_type_0ELS1_1EiiEEvT3_PKT2_PKS2_21rocsparse_index_base_PS3_S9_.has_recursion, 0
	.set _ZN9rocsparseL20csxtril_count_kernelILj1024EL20rocsparse_diag_type_0ELS1_1EiiEEvT3_PKT2_PKS2_21rocsparse_index_base_PS3_S9_.has_indirect_call, 0
	.section	.AMDGPU.csdata,"",@progbits
; Kernel info:
; codeLenInByte = 348
; TotalNumSgprs: 15
; NumVgprs: 10
; ScratchSize: 0
; MemoryBound: 0
; FloatMode: 240
; IeeeMode: 1
; LDSByteSize: 0 bytes/workgroup (compile time only)
; SGPRBlocks: 1
; VGPRBlocks: 2
; NumSGPRsForWavesPerEU: 15
; NumVGPRsForWavesPerEU: 10
; Occupancy: 10
; WaveLimiterHint : 0
; COMPUTE_PGM_RSRC2:SCRATCH_EN: 0
; COMPUTE_PGM_RSRC2:USER_SGPR: 6
; COMPUTE_PGM_RSRC2:TRAP_HANDLER: 0
; COMPUTE_PGM_RSRC2:TGID_X_EN: 1
; COMPUTE_PGM_RSRC2:TGID_Y_EN: 0
; COMPUTE_PGM_RSRC2:TGID_Z_EN: 0
; COMPUTE_PGM_RSRC2:TIDIG_COMP_CNT: 0
	.section	.AMDGPU.gpr_maximums,"",@progbits
	.set amdgpu.max_num_vgpr, 0
	.set amdgpu.max_num_agpr, 0
	.set amdgpu.max_num_sgpr, 0
	.section	.AMDGPU.csdata,"",@progbits
	.type	__hip_cuid_6ecdfb7f4c70d34b,@object ; @__hip_cuid_6ecdfb7f4c70d34b
	.section	.bss,"aw",@nobits
	.globl	__hip_cuid_6ecdfb7f4c70d34b
__hip_cuid_6ecdfb7f4c70d34b:
	.byte	0                               ; 0x0
	.size	__hip_cuid_6ecdfb7f4c70d34b, 1

	.ident	"AMD clang version 22.0.0git (https://github.com/RadeonOpenCompute/llvm-project roc-7.2.4 26084 f58b06dce1f9c15707c5f808fd002e18c2accf7e)"
	.section	".note.GNU-stack","",@progbits
	.addrsig
	.addrsig_sym __hip_cuid_6ecdfb7f4c70d34b
	.amdgpu_metadata
---
amdhsa.kernels:
  - .args:
      - .offset:         0
        .size:           4
        .value_kind:     by_value
      - .address_space:  global
        .offset:         8
        .size:           8
        .value_kind:     global_buffer
      - .address_space:  global
        .offset:         16
        .size:           8
        .value_kind:     global_buffer
      - .offset:         24
        .size:           4
        .value_kind:     by_value
      - .address_space:  global
        .offset:         32
        .size:           8
        .value_kind:     global_buffer
      - .address_space:  global
        .offset:         40
        .size:           8
        .value_kind:     global_buffer
      - .offset:         48
        .size:           4
        .value_kind:     hidden_block_count_x
      - .offset:         52
        .size:           4
        .value_kind:     hidden_block_count_y
      - .offset:         56
        .size:           4
        .value_kind:     hidden_block_count_z
      - .offset:         60
        .size:           2
        .value_kind:     hidden_group_size_x
      - .offset:         62
        .size:           2
        .value_kind:     hidden_group_size_y
      - .offset:         64
        .size:           2
        .value_kind:     hidden_group_size_z
      - .offset:         66
        .size:           2
        .value_kind:     hidden_remainder_x
      - .offset:         68
        .size:           2
        .value_kind:     hidden_remainder_y
      - .offset:         70
        .size:           2
        .value_kind:     hidden_remainder_z
      - .offset:         88
        .size:           8
        .value_kind:     hidden_global_offset_x
      - .offset:         96
        .size:           8
        .value_kind:     hidden_global_offset_y
      - .offset:         104
        .size:           8
        .value_kind:     hidden_global_offset_z
      - .offset:         112
        .size:           2
        .value_kind:     hidden_grid_dims
    .group_segment_fixed_size: 0
    .kernarg_segment_align: 8
    .kernarg_segment_size: 304
    .language:       OpenCL C
    .language_version:
      - 2
      - 0
    .max_flat_workgroup_size: 1024
    .name:           _ZN9rocsparseL20csxtril_count_kernelILj1024EL20rocsparse_diag_type_1ELS1_0EiiEEvT3_PKT2_PKS2_21rocsparse_index_base_PS3_S9_
    .private_segment_fixed_size: 0
    .sgpr_count:     11
    .sgpr_spill_count: 0
    .symbol:         _ZN9rocsparseL20csxtril_count_kernelILj1024EL20rocsparse_diag_type_1ELS1_0EiiEEvT3_PKT2_PKS2_21rocsparse_index_base_PS3_S9_.kd
    .uniform_work_group_size: 1
    .uses_dynamic_stack: false
    .vgpr_count:     10
    .vgpr_spill_count: 0
    .wavefront_size: 64
  - .args:
      - .offset:         0
        .size:           4
        .value_kind:     by_value
      - .address_space:  global
        .offset:         8
        .size:           8
        .value_kind:     global_buffer
      - .address_space:  global
        .offset:         16
        .size:           8
        .value_kind:     global_buffer
      - .offset:         24
        .size:           4
        .value_kind:     by_value
      - .address_space:  global
        .offset:         32
        .size:           8
        .value_kind:     global_buffer
      - .address_space:  global
        .offset:         40
        .size:           8
        .value_kind:     global_buffer
      - .offset:         48
        .size:           4
        .value_kind:     hidden_block_count_x
      - .offset:         52
        .size:           4
        .value_kind:     hidden_block_count_y
      - .offset:         56
        .size:           4
        .value_kind:     hidden_block_count_z
      - .offset:         60
        .size:           2
        .value_kind:     hidden_group_size_x
      - .offset:         62
        .size:           2
        .value_kind:     hidden_group_size_y
      - .offset:         64
        .size:           2
        .value_kind:     hidden_group_size_z
      - .offset:         66
        .size:           2
        .value_kind:     hidden_remainder_x
      - .offset:         68
        .size:           2
        .value_kind:     hidden_remainder_y
      - .offset:         70
        .size:           2
        .value_kind:     hidden_remainder_z
      - .offset:         88
        .size:           8
        .value_kind:     hidden_global_offset_x
      - .offset:         96
        .size:           8
        .value_kind:     hidden_global_offset_y
      - .offset:         104
        .size:           8
        .value_kind:     hidden_global_offset_z
      - .offset:         112
        .size:           2
        .value_kind:     hidden_grid_dims
    .group_segment_fixed_size: 0
    .kernarg_segment_align: 8
    .kernarg_segment_size: 304
    .language:       OpenCL C
    .language_version:
      - 2
      - 0
    .max_flat_workgroup_size: 1024
    .name:           _ZN9rocsparseL20csxtril_count_kernelILj1024EL20rocsparse_diag_type_1ELS1_1EiiEEvT3_PKT2_PKS2_21rocsparse_index_base_PS3_S9_
    .private_segment_fixed_size: 0
    .sgpr_count:     11
    .sgpr_spill_count: 0
    .symbol:         _ZN9rocsparseL20csxtril_count_kernelILj1024EL20rocsparse_diag_type_1ELS1_1EiiEEvT3_PKT2_PKS2_21rocsparse_index_base_PS3_S9_.kd
    .uniform_work_group_size: 1
    .uses_dynamic_stack: false
    .vgpr_count:     10
    .vgpr_spill_count: 0
    .wavefront_size: 64
  - .args:
      - .offset:         0
        .size:           4
        .value_kind:     by_value
      - .address_space:  global
        .offset:         8
        .size:           8
        .value_kind:     global_buffer
      - .address_space:  global
        .offset:         16
        .size:           8
        .value_kind:     global_buffer
      - .offset:         24
        .size:           4
        .value_kind:     by_value
      - .address_space:  global
        .offset:         32
        .size:           8
        .value_kind:     global_buffer
      - .address_space:  global
        .offset:         40
        .size:           8
        .value_kind:     global_buffer
      - .offset:         48
        .size:           4
        .value_kind:     hidden_block_count_x
      - .offset:         52
        .size:           4
        .value_kind:     hidden_block_count_y
      - .offset:         56
        .size:           4
        .value_kind:     hidden_block_count_z
      - .offset:         60
        .size:           2
        .value_kind:     hidden_group_size_x
      - .offset:         62
        .size:           2
        .value_kind:     hidden_group_size_y
      - .offset:         64
        .size:           2
        .value_kind:     hidden_group_size_z
      - .offset:         66
        .size:           2
        .value_kind:     hidden_remainder_x
      - .offset:         68
        .size:           2
        .value_kind:     hidden_remainder_y
      - .offset:         70
        .size:           2
        .value_kind:     hidden_remainder_z
      - .offset:         88
        .size:           8
        .value_kind:     hidden_global_offset_x
      - .offset:         96
        .size:           8
        .value_kind:     hidden_global_offset_y
      - .offset:         104
        .size:           8
        .value_kind:     hidden_global_offset_z
      - .offset:         112
        .size:           2
        .value_kind:     hidden_grid_dims
    .group_segment_fixed_size: 0
    .kernarg_segment_align: 8
    .kernarg_segment_size: 304
    .language:       OpenCL C
    .language_version:
      - 2
      - 0
    .max_flat_workgroup_size: 1024
    .name:           _ZN9rocsparseL20csxtril_count_kernelILj1024EL20rocsparse_diag_type_0ELS1_1EiiEEvT3_PKT2_PKS2_21rocsparse_index_base_PS3_S9_
    .private_segment_fixed_size: 0
    .sgpr_count:     15
    .sgpr_spill_count: 0
    .symbol:         _ZN9rocsparseL20csxtril_count_kernelILj1024EL20rocsparse_diag_type_0ELS1_1EiiEEvT3_PKT2_PKS2_21rocsparse_index_base_PS3_S9_.kd
    .uniform_work_group_size: 1
    .uses_dynamic_stack: false
    .vgpr_count:     10
    .vgpr_spill_count: 0
    .wavefront_size: 64
amdhsa.target:   amdgcn-amd-amdhsa--gfx906
amdhsa.version:
  - 1
  - 2
...

	.end_amdgpu_metadata
